;; amdgpu-corpus repo=ROCm/rocFFT kind=compiled arch=gfx906 opt=O3
	.text
	.amdgcn_target "amdgcn-amd-amdhsa--gfx906"
	.amdhsa_code_object_version 6
	.protected	fft_rtc_fwd_len918_factors_17_9_2_3_wgs_102_tpt_102_halfLds_half_op_CI_CI_sbrr_dirReg ; -- Begin function fft_rtc_fwd_len918_factors_17_9_2_3_wgs_102_tpt_102_halfLds_half_op_CI_CI_sbrr_dirReg
	.globl	fft_rtc_fwd_len918_factors_17_9_2_3_wgs_102_tpt_102_halfLds_half_op_CI_CI_sbrr_dirReg
	.p2align	8
	.type	fft_rtc_fwd_len918_factors_17_9_2_3_wgs_102_tpt_102_halfLds_half_op_CI_CI_sbrr_dirReg,@function
fft_rtc_fwd_len918_factors_17_9_2_3_wgs_102_tpt_102_halfLds_half_op_CI_CI_sbrr_dirReg: ; @fft_rtc_fwd_len918_factors_17_9_2_3_wgs_102_tpt_102_halfLds_half_op_CI_CI_sbrr_dirReg
; %bb.0:
	s_load_dwordx4 s[16:19], s[4:5], 0x18
	s_load_dwordx4 s[12:15], s[4:5], 0x0
	;; [unrolled: 1-line block ×3, first 2 shown]
	v_mul_u32_u24_e32 v1, 0x283, v0
	v_mov_b32_e32 v3, 0
	s_waitcnt lgkmcnt(0)
	s_load_dwordx2 s[22:23], s[16:17], 0x0
	s_load_dwordx2 s[20:21], s[18:19], 0x0
	v_cmp_lt_u64_e64 s[0:1], s[14:15], 2
	v_mov_b32_e32 v7, 0
	v_add_u32_sdwa v9, s6, v1 dst_sel:DWORD dst_unused:UNUSED_PAD src0_sel:DWORD src1_sel:WORD_1
	v_mov_b32_e32 v10, v3
	s_and_b64 vcc, exec, s[0:1]
	v_mov_b32_e32 v8, 0
	s_cbranch_vccnz .LBB0_8
; %bb.1:
	s_load_dwordx2 s[0:1], s[4:5], 0x10
	s_add_u32 s2, s18, 8
	s_addc_u32 s3, s19, 0
	s_add_u32 s6, s16, 8
	s_addc_u32 s7, s17, 0
	v_mov_b32_e32 v7, 0
	s_waitcnt lgkmcnt(0)
	s_add_u32 s24, s0, 8
	v_mov_b32_e32 v8, 0
	v_mov_b32_e32 v1, v7
	s_addc_u32 s25, s1, 0
	s_mov_b64 s[26:27], 1
	v_mov_b32_e32 v2, v8
.LBB0_2:                                ; =>This Inner Loop Header: Depth=1
	s_load_dwordx2 s[28:29], s[24:25], 0x0
                                        ; implicit-def: $vgpr5_vgpr6
	s_waitcnt lgkmcnt(0)
	v_or_b32_e32 v4, s29, v10
	v_cmp_ne_u64_e32 vcc, 0, v[3:4]
	s_and_saveexec_b64 s[0:1], vcc
	s_xor_b64 s[30:31], exec, s[0:1]
	s_cbranch_execz .LBB0_4
; %bb.3:                                ;   in Loop: Header=BB0_2 Depth=1
	v_cvt_f32_u32_e32 v4, s28
	v_cvt_f32_u32_e32 v5, s29
	s_sub_u32 s0, 0, s28
	s_subb_u32 s1, 0, s29
	v_mac_f32_e32 v4, 0x4f800000, v5
	v_rcp_f32_e32 v4, v4
	v_mul_f32_e32 v4, 0x5f7ffffc, v4
	v_mul_f32_e32 v5, 0x2f800000, v4
	v_trunc_f32_e32 v5, v5
	v_mac_f32_e32 v4, 0xcf800000, v5
	v_cvt_u32_f32_e32 v5, v5
	v_cvt_u32_f32_e32 v4, v4
	v_mul_lo_u32 v6, s0, v5
	v_mul_hi_u32 v11, s0, v4
	v_mul_lo_u32 v13, s1, v4
	v_mul_lo_u32 v12, s0, v4
	v_add_u32_e32 v6, v11, v6
	v_add_u32_e32 v6, v6, v13
	v_mul_hi_u32 v11, v4, v12
	v_mul_lo_u32 v13, v4, v6
	v_mul_hi_u32 v15, v4, v6
	v_mul_hi_u32 v14, v5, v12
	v_mul_lo_u32 v12, v5, v12
	v_mul_hi_u32 v16, v5, v6
	v_add_co_u32_e32 v11, vcc, v11, v13
	v_addc_co_u32_e32 v13, vcc, 0, v15, vcc
	v_mul_lo_u32 v6, v5, v6
	v_add_co_u32_e32 v11, vcc, v11, v12
	v_addc_co_u32_e32 v11, vcc, v13, v14, vcc
	v_addc_co_u32_e32 v12, vcc, 0, v16, vcc
	v_add_co_u32_e32 v6, vcc, v11, v6
	v_addc_co_u32_e32 v11, vcc, 0, v12, vcc
	v_add_co_u32_e32 v4, vcc, v4, v6
	v_addc_co_u32_e32 v5, vcc, v5, v11, vcc
	v_mul_lo_u32 v6, s0, v5
	v_mul_hi_u32 v11, s0, v4
	v_mul_lo_u32 v12, s1, v4
	v_mul_lo_u32 v13, s0, v4
	v_add_u32_e32 v6, v11, v6
	v_add_u32_e32 v6, v6, v12
	v_mul_lo_u32 v14, v4, v6
	v_mul_hi_u32 v15, v4, v13
	v_mul_hi_u32 v16, v4, v6
	;; [unrolled: 1-line block ×3, first 2 shown]
	v_mul_lo_u32 v13, v5, v13
	v_mul_hi_u32 v11, v5, v6
	v_add_co_u32_e32 v14, vcc, v15, v14
	v_addc_co_u32_e32 v15, vcc, 0, v16, vcc
	v_mul_lo_u32 v6, v5, v6
	v_add_co_u32_e32 v13, vcc, v14, v13
	v_addc_co_u32_e32 v12, vcc, v15, v12, vcc
	v_addc_co_u32_e32 v11, vcc, 0, v11, vcc
	v_add_co_u32_e32 v6, vcc, v12, v6
	v_addc_co_u32_e32 v11, vcc, 0, v11, vcc
	v_add_co_u32_e32 v6, vcc, v4, v6
	v_addc_co_u32_e32 v11, vcc, v5, v11, vcc
	v_mad_u64_u32 v[4:5], s[0:1], v9, v11, 0
	v_mul_hi_u32 v12, v9, v6
	v_add_co_u32_e32 v13, vcc, v12, v4
	v_addc_co_u32_e32 v14, vcc, 0, v5, vcc
	v_mad_u64_u32 v[4:5], s[0:1], v10, v6, 0
	v_mad_u64_u32 v[11:12], s[0:1], v10, v11, 0
	v_add_co_u32_e32 v4, vcc, v13, v4
	v_addc_co_u32_e32 v4, vcc, v14, v5, vcc
	v_addc_co_u32_e32 v5, vcc, 0, v12, vcc
	v_add_co_u32_e32 v11, vcc, v4, v11
	v_addc_co_u32_e32 v6, vcc, 0, v5, vcc
	v_mul_lo_u32 v12, s29, v11
	v_mul_lo_u32 v13, s28, v6
	v_mad_u64_u32 v[4:5], s[0:1], s28, v11, 0
	v_add3_u32 v5, v5, v13, v12
	v_sub_u32_e32 v12, v10, v5
	v_mov_b32_e32 v13, s29
	v_sub_co_u32_e32 v4, vcc, v9, v4
	v_subb_co_u32_e64 v12, s[0:1], v12, v13, vcc
	v_subrev_co_u32_e64 v13, s[0:1], s28, v4
	v_subbrev_co_u32_e64 v12, s[0:1], 0, v12, s[0:1]
	v_cmp_le_u32_e64 s[0:1], s29, v12
	v_cndmask_b32_e64 v14, 0, -1, s[0:1]
	v_cmp_le_u32_e64 s[0:1], s28, v13
	v_cndmask_b32_e64 v13, 0, -1, s[0:1]
	v_cmp_eq_u32_e64 s[0:1], s29, v12
	v_cndmask_b32_e64 v12, v14, v13, s[0:1]
	v_add_co_u32_e64 v13, s[0:1], 2, v11
	v_addc_co_u32_e64 v14, s[0:1], 0, v6, s[0:1]
	v_add_co_u32_e64 v15, s[0:1], 1, v11
	v_addc_co_u32_e64 v16, s[0:1], 0, v6, s[0:1]
	v_subb_co_u32_e32 v5, vcc, v10, v5, vcc
	v_cmp_ne_u32_e64 s[0:1], 0, v12
	v_cmp_le_u32_e32 vcc, s29, v5
	v_cndmask_b32_e64 v12, v16, v14, s[0:1]
	v_cndmask_b32_e64 v14, 0, -1, vcc
	v_cmp_le_u32_e32 vcc, s28, v4
	v_cndmask_b32_e64 v4, 0, -1, vcc
	v_cmp_eq_u32_e32 vcc, s29, v5
	v_cndmask_b32_e32 v4, v14, v4, vcc
	v_cmp_ne_u32_e32 vcc, 0, v4
	v_cndmask_b32_e64 v4, v15, v13, s[0:1]
	v_cndmask_b32_e32 v6, v6, v12, vcc
	v_cndmask_b32_e32 v5, v11, v4, vcc
.LBB0_4:                                ;   in Loop: Header=BB0_2 Depth=1
	s_andn2_saveexec_b64 s[0:1], s[30:31]
	s_cbranch_execz .LBB0_6
; %bb.5:                                ;   in Loop: Header=BB0_2 Depth=1
	v_cvt_f32_u32_e32 v4, s28
	s_sub_i32 s30, 0, s28
	v_rcp_iflag_f32_e32 v4, v4
	v_mul_f32_e32 v4, 0x4f7ffffe, v4
	v_cvt_u32_f32_e32 v4, v4
	v_mul_lo_u32 v5, s30, v4
	v_mul_hi_u32 v5, v4, v5
	v_add_u32_e32 v4, v4, v5
	v_mul_hi_u32 v4, v9, v4
	v_mul_lo_u32 v5, v4, s28
	v_add_u32_e32 v6, 1, v4
	v_sub_u32_e32 v5, v9, v5
	v_subrev_u32_e32 v11, s28, v5
	v_cmp_le_u32_e32 vcc, s28, v5
	v_cndmask_b32_e32 v5, v5, v11, vcc
	v_cndmask_b32_e32 v4, v4, v6, vcc
	v_add_u32_e32 v6, 1, v4
	v_cmp_le_u32_e32 vcc, s28, v5
	v_cndmask_b32_e32 v5, v4, v6, vcc
	v_mov_b32_e32 v6, v3
.LBB0_6:                                ;   in Loop: Header=BB0_2 Depth=1
	s_or_b64 exec, exec, s[0:1]
	v_mul_lo_u32 v4, v6, s28
	v_mul_lo_u32 v13, v5, s29
	v_mad_u64_u32 v[11:12], s[0:1], v5, s28, 0
	s_load_dwordx2 s[0:1], s[6:7], 0x0
	s_load_dwordx2 s[28:29], s[2:3], 0x0
	v_add3_u32 v4, v12, v13, v4
	v_sub_co_u32_e32 v9, vcc, v9, v11
	v_subb_co_u32_e32 v4, vcc, v10, v4, vcc
	s_waitcnt lgkmcnt(0)
	v_mul_lo_u32 v10, s0, v4
	v_mul_lo_u32 v11, s1, v9
	v_mad_u64_u32 v[7:8], s[0:1], s0, v9, v[7:8]
	s_add_u32 s26, s26, 1
	s_addc_u32 s27, s27, 0
	s_add_u32 s2, s2, 8
	v_mul_lo_u32 v4, s28, v4
	v_mul_lo_u32 v12, s29, v9
	v_mad_u64_u32 v[1:2], s[0:1], s28, v9, v[1:2]
	v_add3_u32 v8, v11, v8, v10
	s_addc_u32 s3, s3, 0
	v_mov_b32_e32 v9, s14
	s_add_u32 s6, s6, 8
	v_mov_b32_e32 v10, s15
	s_addc_u32 s7, s7, 0
	v_cmp_ge_u64_e32 vcc, s[26:27], v[9:10]
	s_add_u32 s24, s24, 8
	v_add3_u32 v2, v12, v2, v4
	s_addc_u32 s25, s25, 0
	s_cbranch_vccnz .LBB0_9
; %bb.7:                                ;   in Loop: Header=BB0_2 Depth=1
	v_mov_b32_e32 v10, v6
	v_mov_b32_e32 v9, v5
	s_branch .LBB0_2
.LBB0_8:
	v_mov_b32_e32 v1, v7
	v_mov_b32_e32 v5, v9
	;; [unrolled: 1-line block ×4, first 2 shown]
.LBB0_9:
	s_load_dwordx2 s[0:1], s[4:5], 0x28
	s_mov_b32 s4, 0x2828283
	v_mul_hi_u32 v3, v0, s4
	s_lshl_b64 s[2:3], s[14:15], 3
	s_add_u32 s4, s18, s2
	s_waitcnt lgkmcnt(0)
	v_cmp_gt_u64_e32 vcc, s[0:1], v[5:6]
	v_mul_u32_u24_e32 v3, 0x66, v3
	v_sub_u32_e32 v3, v0, v3
	v_cmp_gt_u32_e64 s[0:1], 54, v3
	s_addc_u32 s5, s19, s3
	s_and_b64 s[14:15], vcc, s[0:1]
	v_mov_b32_e32 v16, 0
	v_mov_b32_e32 v15, 0
                                        ; implicit-def: $vgpr17
                                        ; implicit-def: $vgpr4
                                        ; implicit-def: $vgpr18
                                        ; implicit-def: $vgpr9
                                        ; implicit-def: $vgpr19
                                        ; implicit-def: $vgpr10
                                        ; implicit-def: $vgpr20
                                        ; implicit-def: $vgpr11
                                        ; implicit-def: $vgpr21
                                        ; implicit-def: $vgpr12
                                        ; implicit-def: $vgpr22
                                        ; implicit-def: $vgpr13
                                        ; implicit-def: $vgpr23
                                        ; implicit-def: $vgpr14
                                        ; implicit-def: $vgpr24
                                        ; implicit-def: $vgpr33
                                        ; implicit-def: $vgpr25
                                        ; implicit-def: $vgpr34
                                        ; implicit-def: $vgpr26
                                        ; implicit-def: $vgpr41
                                        ; implicit-def: $vgpr27
                                        ; implicit-def: $vgpr40
                                        ; implicit-def: $vgpr28
                                        ; implicit-def: $vgpr39
                                        ; implicit-def: $vgpr29
                                        ; implicit-def: $vgpr38
                                        ; implicit-def: $vgpr30
                                        ; implicit-def: $vgpr37
                                        ; implicit-def: $vgpr31
                                        ; implicit-def: $vgpr36
                                        ; implicit-def: $vgpr32
                                        ; implicit-def: $vgpr35
	s_and_saveexec_b64 s[6:7], s[14:15]
	s_cbranch_execz .LBB0_11
; %bb.10:
	s_add_u32 s2, s16, s2
	s_addc_u32 s3, s17, s3
	s_load_dwordx2 s[2:3], s[2:3], 0x0
	v_mad_u64_u32 v[9:10], s[14:15], s22, v3, 0
	v_lshlrev_b64 v[7:8], 2, v[7:8]
	v_mov_b32_e32 v0, v10
	s_waitcnt lgkmcnt(0)
	v_mul_lo_u32 v4, s3, v5
	v_mul_lo_u32 v15, s2, v6
	v_mad_u64_u32 v[11:12], s[2:3], s2, v5, 0
	v_mad_u64_u32 v[13:14], s[2:3], s23, v3, v[0:1]
	v_add3_u32 v12, v12, v15, v4
	v_lshlrev_b64 v[11:12], 2, v[11:12]
	v_mov_b32_e32 v10, v13
	v_mov_b32_e32 v0, s9
	v_add_co_u32_e64 v4, s[2:3], s8, v11
	v_add_u32_e32 v13, 54, v3
	v_addc_co_u32_e64 v0, s[2:3], v0, v12, s[2:3]
	v_mad_u64_u32 v[11:12], s[2:3], s22, v13, 0
	v_add_co_u32_e64 v41, s[2:3], v4, v7
	v_addc_co_u32_e64 v42, s[2:3], v0, v8, s[2:3]
	v_mov_b32_e32 v0, v12
	v_add_u32_e32 v4, 0x6c, v3
	v_lshlrev_b64 v[7:8], 2, v[9:10]
	v_mad_u64_u32 v[9:10], s[2:3], s23, v13, v[0:1]
	v_mad_u64_u32 v[13:14], s[2:3], s22, v4, 0
	v_add_co_u32_e64 v7, s[2:3], v41, v7
	v_mov_b32_e32 v12, v9
	v_mov_b32_e32 v0, v14
	v_addc_co_u32_e64 v8, s[2:3], v42, v8, s[2:3]
	v_lshlrev_b64 v[9:10], 2, v[11:12]
	v_mad_u64_u32 v[11:12], s[2:3], s23, v4, v[0:1]
	v_add_u32_e32 v4, 0xa2, v3
	v_mad_u64_u32 v[15:16], s[2:3], s22, v4, 0
	v_add_co_u32_e64 v17, s[2:3], v41, v9
	v_mov_b32_e32 v0, v16
	v_addc_co_u32_e64 v18, s[2:3], v42, v10, s[2:3]
	v_mov_b32_e32 v14, v11
	v_mad_u64_u32 v[11:12], s[2:3], s23, v4, v[0:1]
	v_add_u32_e32 v4, 0xd8, v3
	v_lshlrev_b64 v[9:10], 2, v[13:14]
	v_mad_u64_u32 v[12:13], s[2:3], s22, v4, 0
	v_add_co_u32_e64 v19, s[2:3], v41, v9
	v_mov_b32_e32 v0, v13
	v_addc_co_u32_e64 v20, s[2:3], v42, v10, s[2:3]
	v_mov_b32_e32 v16, v11
	v_mad_u64_u32 v[13:14], s[2:3], s23, v4, v[0:1]
	v_add_u32_e32 v4, 0x10e, v3
	v_lshlrev_b64 v[9:10], 2, v[15:16]
	v_mad_u64_u32 v[14:15], s[2:3], s22, v4, 0
	v_add_co_u32_e64 v21, s[2:3], v41, v9
	v_mov_b32_e32 v0, v15
	v_addc_co_u32_e64 v22, s[2:3], v42, v10, s[2:3]
	v_lshlrev_b64 v[9:10], 2, v[12:13]
	v_mad_u64_u32 v[11:12], s[2:3], s23, v4, v[0:1]
	v_add_u32_e32 v4, 0x144, v3
	v_mad_u64_u32 v[12:13], s[2:3], s22, v4, 0
	v_add_co_u32_e64 v23, s[2:3], v41, v9
	v_mov_b32_e32 v15, v11
	v_mov_b32_e32 v0, v13
	v_addc_co_u32_e64 v24, s[2:3], v42, v10, s[2:3]
	v_lshlrev_b64 v[9:10], 2, v[14:15]
	v_mad_u64_u32 v[13:14], s[2:3], s23, v4, v[0:1]
	v_add_u32_e32 v4, 0x17a, v3
	v_mad_u64_u32 v[14:15], s[2:3], s22, v4, 0
	v_add_co_u32_e64 v25, s[2:3], v41, v9
	v_mov_b32_e32 v0, v15
	v_addc_co_u32_e64 v26, s[2:3], v42, v10, s[2:3]
	v_lshlrev_b64 v[9:10], 2, v[12:13]
	v_mad_u64_u32 v[11:12], s[2:3], s23, v4, v[0:1]
	v_add_co_u32_e64 v27, s[2:3], v41, v9
	v_add_u32_e32 v4, 0x1b0, v3
	v_addc_co_u32_e64 v28, s[2:3], v42, v10, s[2:3]
	v_mad_u64_u32 v[29:30], s[2:3], s22, v4, 0
	v_mov_b32_e32 v15, v11
	v_lshlrev_b64 v[9:10], 2, v[14:15]
	v_mov_b32_e32 v0, v30
	v_add_co_u32_e64 v31, s[2:3], v41, v9
	v_addc_co_u32_e64 v32, s[2:3], v42, v10, s[2:3]
	v_mad_u64_u32 v[33:34], s[2:3], s23, v4, v[0:1]
	v_add_u32_e32 v16, 0x1e6, v3
	v_mad_u64_u32 v[34:35], s[2:3], s22, v16, 0
	global_load_dword v15, v[7:8], off
	global_load_dword v4, v[17:18], off
	;; [unrolled: 1-line block ×8, first 2 shown]
	v_add_u32_e32 v21, 0x21c, v3
	v_mov_b32_e32 v0, v35
	v_mad_u64_u32 v[16:17], s[2:3], s23, v16, v[0:1]
	v_mad_u64_u32 v[17:18], s[2:3], s22, v21, 0
	v_mov_b32_e32 v30, v33
	v_lshlrev_b64 v[7:8], 2, v[29:30]
	v_mov_b32_e32 v0, v18
	v_add_co_u32_e64 v7, s[2:3], v41, v7
	v_addc_co_u32_e64 v8, s[2:3], v42, v8, s[2:3]
	v_mad_u64_u32 v[21:22], s[2:3], s23, v21, v[0:1]
	v_add_u32_e32 v24, 0x252, v3
	v_mad_u64_u32 v[22:23], s[2:3], s22, v24, 0
	v_mov_b32_e32 v35, v16
	v_lshlrev_b64 v[19:20], 2, v[34:35]
	v_mov_b32_e32 v18, v21
	v_add_co_u32_e64 v19, s[2:3], v41, v19
	v_mov_b32_e32 v0, v23
	v_addc_co_u32_e64 v20, s[2:3], v42, v20, s[2:3]
	v_lshlrev_b64 v[16:17], 2, v[17:18]
	v_mad_u64_u32 v[23:24], s[2:3], s23, v24, v[0:1]
	v_add_u32_e32 v18, 0x288, v3
	v_mad_u64_u32 v[24:25], s[2:3], s22, v18, 0
	v_add_co_u32_e64 v16, s[2:3], v41, v16
	v_mov_b32_e32 v0, v25
	v_addc_co_u32_e64 v17, s[2:3], v42, v17, s[2:3]
	v_mad_u64_u32 v[25:26], s[2:3], s23, v18, v[0:1]
	v_add_u32_e32 v18, 0x2be, v3
	v_mad_u64_u32 v[26:27], s[2:3], s22, v18, 0
	v_lshlrev_b64 v[21:22], 2, v[22:23]
	v_lshlrev_b64 v[23:24], 2, v[24:25]
	v_add_co_u32_e64 v21, s[2:3], v41, v21
	v_mov_b32_e32 v0, v27
	v_addc_co_u32_e64 v22, s[2:3], v42, v22, s[2:3]
	v_mad_u64_u32 v[27:28], s[2:3], s23, v18, v[0:1]
	v_add_u32_e32 v18, 0x2f4, v3
	v_mad_u64_u32 v[28:29], s[2:3], s22, v18, 0
	v_add_co_u32_e64 v23, s[2:3], v41, v23
	v_mov_b32_e32 v0, v29
	v_addc_co_u32_e64 v24, s[2:3], v42, v24, s[2:3]
	v_mad_u64_u32 v[29:30], s[2:3], s23, v18, v[0:1]
	v_add_u32_e32 v18, 0x32a, v3
	v_mad_u64_u32 v[30:31], s[2:3], s22, v18, 0
	v_lshlrev_b64 v[25:26], 2, v[26:27]
	v_lshlrev_b64 v[27:28], 2, v[28:29]
	v_add_co_u32_e64 v25, s[2:3], v41, v25
	v_mov_b32_e32 v0, v31
	v_addc_co_u32_e64 v26, s[2:3], v42, v26, s[2:3]
	v_mad_u64_u32 v[31:32], s[2:3], s23, v18, v[0:1]
	v_add_co_u32_e64 v27, s[2:3], v41, v27
	v_add_u32_e32 v18, 0x360, v3
	v_addc_co_u32_e64 v28, s[2:3], v42, v28, s[2:3]
	v_lshlrev_b64 v[29:30], 2, v[30:31]
	v_mad_u64_u32 v[31:32], s[2:3], s22, v18, 0
	v_add_co_u32_e64 v29, s[2:3], v41, v29
	v_mov_b32_e32 v0, v32
	v_addc_co_u32_e64 v30, s[2:3], v42, v30, s[2:3]
	v_mad_u64_u32 v[32:33], s[2:3], s23, v18, v[0:1]
	global_load_dword v33, v[7:8], off
	global_load_dword v34, v[19:20], off
	;; [unrolled: 1-line block ×8, first 2 shown]
	s_waitcnt vmcnt(15)
	v_lshrrev_b32_e32 v16, 16, v15
	v_lshlrev_b64 v[7:8], 2, v[31:32]
	s_waitcnt vmcnt(14)
	v_lshrrev_b32_e32 v17, 16, v4
	v_add_co_u32_e64 v7, s[2:3], v41, v7
	v_addc_co_u32_e64 v8, s[2:3], v42, v8, s[2:3]
	global_load_dword v41, v[7:8], off
	s_waitcnt vmcnt(14)
	v_lshrrev_b32_e32 v18, 16, v9
	s_waitcnt vmcnt(13)
	v_lshrrev_b32_e32 v19, 16, v10
	;; [unrolled: 2-line block ×15, first 2 shown]
.LBB0_11:
	s_or_b64 exec, exec, s[6:7]
	v_add_f16_e32 v7, v4, v41
	v_sub_f16_e32 v8, v17, v26
	v_mul_f16_e32 v57, 0xbbdd, v7
	s_mov_b32 s2, 0xb1e1
	v_add_f16_e32 v42, v9, v40
	v_fma_f16 v0, v8, s2, v57
	v_sub_f16_e32 v43, v18, v27
	v_mul_f16_e32 v58, 0x3b76, v42
	s_movk_i32 s2, 0x35c8
	v_add_f16_e32 v0, v15, v0
	v_fma_f16 v44, v43, s2, v58
	v_add_f16_e32 v0, v0, v44
	v_add_f16_e32 v44, v10, v39
	v_sub_f16_e32 v45, v19, v28
	v_mul_f16_e32 v56, 0xbacd, v44
	s_mov_b32 s2, 0xb836
	v_fma_f16 v46, v45, s2, v56
	v_add_f16_e32 v0, v0, v46
	v_add_f16_e32 v46, v11, v38
	s_movk_i32 s2, 0x3964
	v_sub_f16_e32 v47, v20, v29
	v_mul_f16_e32 v59, 0x39e9, v46
	v_fma_f16 v48, v47, s2, v59
	v_add_f16_e32 v0, v0, v48
	v_add_f16_e32 v48, v12, v37
	s_mov_b32 s2, 0xba62
	v_sub_f16_e32 v49, v21, v30
	v_mul_f16_e32 v60, 0xb8d2, v48
	v_fma_f16 v50, v49, s2, v60
	v_add_f16_e32 v0, v0, v50
	v_add_f16_e32 v50, v13, v36
	s_movk_i32 s2, 0x3b29
	v_sub_f16_e32 v51, v22, v31
	v_mul_f16_e32 v61, 0x3722, v50
	v_fma_f16 v52, v51, s2, v61
	v_add_f16_e32 v0, v0, v52
	v_add_f16_e32 v52, v14, v35
	s_mov_b32 s2, 0xbbb2
	v_sub_f16_e32 v53, v23, v32
	v_mul_f16_e32 v62, 0xb461, v52
	v_fma_f16 v54, v53, s2, v62
	v_add_f16_e32 v0, v0, v54
	v_add_f16_e32 v54, v33, v34
	s_movk_i32 s2, 0x3bf7
	v_sub_f16_e32 v55, v24, v25
	v_mul_f16_e32 v63, 0x2de8, v54
	v_fma_f16 v64, v55, s2, v63
	v_add_f16_e32 v0, v64, v0
	s_mov_b32 s16, 0xbbdd
	s_movk_i32 s22, 0x3b76
	s_mov_b32 s17, 0xbacd
	s_movk_i32 s23, 0x39e9
	;; [unrolled: 2-line block ×4, first 2 shown]
	s_and_saveexec_b64 s[2:3], s[0:1]
	s_cbranch_execz .LBB0_13
; %bb.12:
	s_mov_b32 s27, 0xb964b5c8
	v_pk_mul_f16 v64, v8, s27 op_sel_hi:[0,1]
	s_mov_b32 s27, 0xbbf7b964
	v_pk_mul_f16 v65, v43, s27 op_sel_hi:[0,1]
	s_mov_b32 s27, 0xba62bb29
	v_fma_f16 v91, v7, s22, v64
	v_pk_mul_f16 v66, v45, s27 op_sel_hi:[0,1]
	s_mov_b32 s27, 0xb1e1bbf7
	v_add_f16_e32 v91, v15, v91
	v_fma_f16 v92, v42, s23, v65
	v_pk_mul_f16 v86, v47, s27 op_sel_hi:[0,1]
	s_mov_b32 s27, 0x3836bbb2
	v_add_f16_e32 v91, v91, v92
	;; [unrolled: 4-line block ×3, first 2 shown]
	v_fma_f16 v92, v46, s25, v86
	v_pk_mul_f16 v88, v51, s27 op_sel_hi:[0,1]
	v_add_f16_e32 v91, v91, v92
	v_fma_f16 v92, v48, s19, v87
	v_add_f16_e32 v91, v91, v92
	v_fma_f16 v92, v50, s18, v88
	s_mov_b32 s18, 0x39e93b76
	s_mov_b32 s19, 0x2de839e9
	v_pk_fma_f16 v64, v7, s18, v64 op_sel_hi:[0,1,1] neg_lo:[0,0,1] neg_hi:[0,0,1]
	v_pk_add_f16 v64, v15, v64 op_sel_hi:[0,1]
	v_pk_fma_f16 v65, v42, s19, v65 op_sel_hi:[0,1,1] neg_lo:[0,0,1] neg_hi:[0,0,1]
	s_mov_b32 s19, 0xb8d23722
	v_pk_add_f16 v64, v64, v65
	v_pk_fma_f16 v65, v44, s19, v66 op_sel_hi:[0,1,1] neg_lo:[0,0,1] neg_hi:[0,0,1]
	s_mov_b32 s22, 0xbbdd2de8
	s_mov_b32 s18, 0x3b29ba62
	v_pk_add_f16 v64, v64, v65
	s_mov_b32 s19, 0x3bf73b29
	v_pk_fma_f16 v65, v46, s22, v86 op_sel_hi:[0,1,1] neg_lo:[0,0,1] neg_hi:[0,0,1]
	s_mov_b32 s23, 0xbacdb461
	s_mov_b32 s27, 0x3b29b836
	v_pk_mul_f16 v94, v55, s18 op_sel_hi:[0,1]
	s_mov_b32 s18, 0x2de83722
	v_pk_add_f16 v64, v64, v65
	v_pk_mul_f16 v65, v8, s19 op_sel_hi:[0,1]
	s_mov_b32 s22, 0x31e13a62
	v_pk_fma_f16 v66, v48, s23, v87 op_sel_hi:[0,1,1] neg_lo:[0,0,1] neg_hi:[0,0,1]
	s_mov_b32 s24, 0xb461b8d2
	v_pk_mul_f16 v89, v53, s27 op_sel_hi:[0,1]
	s_mov_b32 s19, 0xbbddb8d2
	v_pk_add_f16 v64, v64, v66
	v_pk_mul_f16 v66, v43, s22 op_sel_hi:[0,1]
	s_mov_b32 s23, 0xbbb2b1e1
	v_pk_fma_f16 v86, v50, s24, v88 op_sel_hi:[0,1,1] neg_lo:[0,0,1] neg_hi:[0,0,1]
	s_mov_b32 s25, 0x3722bacd
	v_pk_fma_f16 v65, v7, s18, v65 op_sel_hi:[0,1,1]
	s_mov_b32 s22, 0xb461bbdd
	v_pk_add_f16 v64, v64, v86
	v_pk_mul_f16 v86, v45, s23 op_sel_hi:[0,1]
	s_mov_b32 s24, 0xb5c8bbb2
	v_pk_fma_f16 v87, v52, s25, v89 op_sel_hi:[0,1,1] neg_lo:[0,0,1] neg_hi:[0,0,1]
	v_pk_add_f16 v65, v15, v65 op_sel_hi:[0,1]
	v_pk_fma_f16 v66, v42, s19, v66 op_sel_hi:[0,1,1]
	s_mov_b32 s23, 0x3b76b461
	v_pk_add_f16 v64, v64, v87
	v_pk_mul_f16 v87, v47, s24 op_sel_hi:[0,1]
	s_mov_b32 s25, 0x3b29b964
	v_pk_add_f16 v65, v65, v66
	v_pk_fma_f16 v86, v44, s22, v86 op_sel_hi:[0,1,1]
	s_mov_b32 s24, 0x372239e9
	v_pk_mul_f16 v66, v49, s25 op_sel_hi:[0,1]
	s_mov_b32 s19, 0x383635c8
	v_pk_add_f16 v65, v65, v86
	v_pk_fma_f16 v87, v46, s23, v87 op_sel_hi:[0,1,1]
	s_mov_b32 s18, 0xbacd3b76
	;; [unrolled: 5-line block ×4, first 2 shown]
	s_mov_b32 s22, 0x39e9bacd
	v_pk_mul_f16 v66, v55, s23 op_sel_hi:[0,1]
	v_pk_add_f16 v65, v65, v86
	v_pk_fma_f16 v86, v52, s19, v87 op_sel_hi:[0,1,1]
	s_mov_b32 s6, 0xb8d2b461
	v_pk_mul_f16 v81, v8, s7 op_sel_hi:[0,1]
	s_mov_b32 s8, 0x3bb23836
	v_pk_add_f16 v65, v65, v86
	v_pk_fma_f16 v66, v54, s22, v66 op_sel_hi:[0,1,1]
	s_mov_b32 s7, 0xb461bacd
	v_pk_mul_f16 v82, v43, s8 op_sel_hi:[0,1]
	s_mov_b32 s9, 0xb5c83964
	v_pk_add_f16 v65, v66, v65
	v_pk_fma_f16 v66, v7, s6, v81 op_sel_hi:[0,1,1] neg_lo:[0,0,1] neg_hi:[0,0,1]
	s_mov_b32 s8, 0x3b7639e9
	v_pk_mul_f16 v83, v45, s9 op_sel_hi:[0,1]
	s_mov_b32 s14, 0xb836bb29
	s_mov_b32 s27, 0x35c8b1e1
	v_pk_add_f16 v66, v15, v66 op_sel_hi:[0,1]
	v_pk_fma_f16 v86, v42, s7, v82 op_sel_hi:[0,1,1] neg_lo:[0,0,1] neg_hi:[0,0,1]
	s_mov_b32 s9, 0xbacd3722
	v_pk_mul_f16 v84, v47, s14 op_sel_hi:[0,1]
	s_mov_b32 s15, 0x3bf7b1e1
	v_pk_mul_f16 v90, v55, s27 op_sel_hi:[0,1]
	v_add_f16_e32 v91, v91, v92
	v_fma_f16 v92, v52, s17, v89
	v_pk_add_f16 v66, v66, v86
	v_pk_fma_f16 v86, v44, s8, v83 op_sel_hi:[0,1,1] neg_lo:[0,0,1] neg_hi:[0,0,1]
	s_mov_b32 s14, 0x2de8bbdd
	v_pk_mul_f16 v85, v49, s15 op_sel_hi:[0,1]
	s_mov_b32 s26, 0xb9643bf7
	v_add_f16_e32 v91, v91, v92
	v_fma_f16 v92, v54, s16, v90
	v_pk_add_f16 v66, v66, v86
	v_pk_fma_f16 v86, v46, s9, v84 op_sel_hi:[0,1,1] neg_lo:[0,0,1] neg_hi:[0,0,1]
	s_mov_b32 s15, 0x39e92de8
	v_add_f16_e32 v91, v92, v91
	v_pk_mul_f16 v92, v51, s26 op_sel_hi:[0,1]
	s_mov_b32 s17, 0xb1e1b5c8
	v_pk_add_f16 v66, v66, v86
	v_pk_fma_f16 v86, v48, s14, v85 op_sel_hi:[0,1,1] neg_lo:[0,0,1] neg_hi:[0,0,1]
	s_mov_b32 s16, 0xbbdd3b76
	v_pk_mul_f16 v93, v53, s17 op_sel_hi:[0,1]
	v_pk_add_f16 v66, v66, v86
	v_pk_fma_f16 v86, v50, s15, v92 op_sel_hi:[0,1,1] neg_lo:[0,0,1] neg_hi:[0,0,1]
	s_mov_b32 s17, 0x3722b8d2
	v_pk_add_f16 v66, v66, v86
	v_pk_fma_f16 v86, v52, s16, v93 op_sel_hi:[0,1,1] neg_lo:[0,0,1] neg_hi:[0,0,1]
	v_pk_add_f16 v66, v66, v86
	v_pk_fma_f16 v86, v54, s17, v94 op_sel_hi:[0,1,1] neg_lo:[0,0,1] neg_hi:[0,0,1]
	v_pk_add_f16 v66, v86, v66
	v_add_f16_e32 v86, v15, v4
	v_add_f16_e32 v86, v86, v9
	;; [unrolled: 1-line block ×13, first 2 shown]
	v_mul_f16_e32 v67, 0xb1e1, v8
	v_mul_f16_e32 v75, 0xbacd, v7
	;; [unrolled: 1-line block ×3, first 2 shown]
	v_add_f16_e32 v86, v39, v86
	s_mov_b32 s18, 0x5040100
	v_mul_f16_e32 v68, 0x35c8, v43
	v_mul_f16_e32 v77, 0x3722, v42
	;; [unrolled: 1-line block ×3, first 2 shown]
	s_mov_b32 s23, 0x3b76bbdd
	v_add_f16_e32 v86, v40, v86
	v_perm_b32 v57, v57, v75, s18
	v_perm_b32 v67, v67, v76, s18
	v_mul_f16_e32 v69, 0xb836, v45
	v_mul_f16_e32 v79, 0x2de8, v44
	;; [unrolled: 1-line block ×3, first 2 shown]
	v_pk_fma_f16 v88, v54, s23, v90 op_sel_hi:[0,1,1] neg_lo:[0,0,1] neg_hi:[0,0,1]
	v_add_f16_e32 v86, v41, v86
	v_mad_u32_u24 v87, v3, 34, 0
	v_pk_add_f16 v57, v57, v67 neg_lo:[0,1] neg_hi:[0,1]
	v_perm_b32 v58, v58, v77, s18
	v_perm_b32 v67, v68, v78, s18
	v_mul_f16_e32 v70, 0x3964, v47
	v_pk_add_f16 v64, v88, v64
	ds_write_b16 v87, v86
	v_mul_f16_e32 v86, 0xb8d2, v46
	v_mul_f16_e32 v88, 0x3a62, v47
	v_pk_add_f16 v58, v58, v67 neg_lo:[0,1] neg_hi:[0,1]
	v_pk_add_f16 v57, v15, v57 op_sel_hi:[0,1]
	v_perm_b32 v56, v56, v79, s18
	v_perm_b32 v67, v69, v80, s18
	v_mul_f16_e32 v71, 0xba62, v49
	v_mul_f16_e32 v68, 0x3b76, v48
	v_pk_add_f16 v57, v57, v58
	v_mul_f16_e32 v58, 0xb5c8, v49
	v_pk_add_f16 v56, v56, v67 neg_lo:[0,1] neg_hi:[0,1]
	v_perm_b32 v59, v59, v86, s18
	v_perm_b32 v67, v70, v88, s18
	v_mul_f16_e32 v72, 0x3b29, v51
	v_mul_f16_e32 v69, 0xbbdd, v50
	v_pk_add_f16 v56, v57, v56
	v_mul_f16_e32 v57, 0xb1e1, v51
	v_pk_add_f16 v59, v59, v67 neg_lo:[0,1] neg_hi:[0,1]
	;; [unrolled: 7-line block ×4, first 2 shown]
	v_perm_b32 v62, v62, v70, s18
	v_perm_b32 v67, v73, v59, s18
	v_pk_add_f16 v56, v56, v61
	v_pk_add_f16 v62, v62, v67 neg_lo:[0,1] neg_hi:[0,1]
	v_perm_b32 v63, v63, v71, s18
	v_perm_b32 v67, v74, v60, s18
	v_pk_add_f16 v56, v56, v62
	v_pk_add_f16 v63, v63, v67 neg_lo:[0,1] neg_hi:[0,1]
	v_pk_mul_f16 v72, v7, s6 op_sel_hi:[0,1]
	v_pk_add_f16 v67, v63, v56
	s_mov_b32 s6, 0xffff
	v_pk_mul_f16 v61, v42, s7 op_sel_hi:[0,1]
	ds_write_b128 v87, v[64:67] offset:2
	v_bfi_b32 v65, s6, v76, v81
	v_bfi_b32 v66, s6, v75, v72
	v_pk_add_f16 v65, v65, v66
	v_bfi_b32 v66, s6, v78, v82
	v_bfi_b32 v61, s6, v77, v61
	v_pk_mul_f16 v73, v44, s8 op_sel_hi:[0,1]
	v_pk_add_f16 v65, v15, v65 op_sel_hi:[0,1]
	v_pk_add_f16 v61, v66, v61
	v_pk_add_f16 v61, v65, v61
	v_bfi_b32 v65, s6, v80, v83
	v_bfi_b32 v66, s6, v79, v73
	v_pk_mul_f16 v62, v46, s9 op_sel_hi:[0,1]
	v_pk_add_f16 v65, v65, v66
	v_pk_add_f16 v61, v61, v65
	v_bfi_b32 v65, s6, v88, v84
	v_bfi_b32 v62, s6, v86, v62
	v_pk_mul_f16 v74, v48, s14 op_sel_hi:[0,1]
	v_pk_add_f16 v62, v65, v62
	v_pk_mul_f16 v56, v50, s15 op_sel_hi:[0,1]
	v_pk_add_f16 v61, v61, v62
	v_bfi_b32 v58, s6, v58, v85
	v_bfi_b32 v62, s6, v68, v74
	v_pk_add_f16 v58, v58, v62
	v_bfi_b32 v57, s6, v57, v92
	v_bfi_b32 v56, s6, v69, v56
	v_pk_mul_f16 v63, v52, s16 op_sel_hi:[0,1]
	v_pk_add_f16 v58, v61, v58
	v_pk_add_f16 v56, v57, v56
	;; [unrolled: 1-line block ×3, first 2 shown]
	v_bfi_b32 v57, s6, v59, v93
	v_bfi_b32 v58, s6, v70, v63
	v_pk_mul_f16 v64, v54, s17 op_sel_hi:[0,1]
	v_pk_add_f16 v57, v57, v58
	v_pk_add_f16 v56, v56, v57
	v_bfi_b32 v57, s6, v60, v94
	v_bfi_b32 v58, s6, v71, v64
	v_pk_add_f16 v57, v57, v58
	s_mov_b32 s7, 0x2de8b461
	v_pk_add_f16 v56, v57, v56
	s_mov_b32 s6, 0xbbf7bbb2
	v_pk_mul_f16 v57, v7, s7 op_sel_hi:[0,1]
	s_mov_b32 s7, 0xbbddbacd
	v_pk_fma_f16 v57, v8, s6, v57 op_sel_hi:[0,1,1]
	s_mov_b32 s6, 0xb1e13836
	v_pk_mul_f16 v58, v42, s7 op_sel_hi:[0,1]
	v_pk_add_f16 v57, v15, v57 op_sel_hi:[0,1]
	v_pk_fma_f16 v58, v43, s6, v58 op_sel_hi:[0,1,1]
	s_mov_b32 s7, 0xb46139e9
	v_pk_add_f16 v57, v57, v58
	s_mov_b32 s6, 0x3bb23964
	v_pk_mul_f16 v58, v44, s7 op_sel_hi:[0,1]
	v_pk_fma_f16 v58, v45, s6, v58 op_sel_hi:[0,1,1]
	s_mov_b32 s7, 0x3b763722
	v_pk_add_f16 v57, v57, v58
	s_mov_b32 s6, 0x35c8bb29
	v_pk_mul_f16 v58, v46, s7 op_sel_hi:[0,1]
	v_pk_fma_f16 v58, v47, s6, v58 op_sel_hi:[0,1,1]
	s_mov_b32 s7, 0x3722bbdd
	v_pk_add_f16 v57, v57, v58
	s_mov_b32 s6, 0xbb29b1e1
	v_pk_mul_f16 v58, v48, s7 op_sel_hi:[0,1]
	v_pk_fma_f16 v58, v49, s6, v58 op_sel_hi:[0,1,1]
	s_mov_b32 s7, 0xbacd2de8
	v_pk_add_f16 v57, v57, v58
	s_mov_b32 s6, 0xb8363bf7
	v_pk_mul_f16 v58, v50, s7 op_sel_hi:[0,1]
	v_pk_fma_f16 v58, v51, s6, v58 op_sel_hi:[0,1,1]
	s_mov_b32 s7, 0xb8d23b76
	v_pk_add_f16 v57, v57, v58
	s_mov_b32 s6, 0x3a62b5c8
	v_pk_mul_f16 v58, v52, s7 op_sel_hi:[0,1]
	v_pk_fma_f16 v58, v53, s6, v58 op_sel_hi:[0,1,1]
	s_mov_b32 s7, 0x39e9b8d2
	v_pk_add_f16 v57, v57, v58
	s_mov_b32 s6, 0x3964ba62
	v_pk_mul_f16 v58, v54, s7 op_sel_hi:[0,1]
	s_mov_b32 s7, 0x39e93722
	v_pk_fma_f16 v58, v55, s6, v58 op_sel_hi:[0,1,1]
	s_mov_b32 s6, 0xb964bb29
	v_pk_mul_f16 v7, v7, s7 op_sel_hi:[0,1]
	s_mov_b32 s7, 0x2de8b8d2
	v_pk_fma_f16 v7, v8, s6, v7 op_sel_hi:[0,1,1]
	s_mov_b32 s6, 0xbbf7ba62
	v_pk_mul_f16 v8, v42, s7 op_sel_hi:[0,1]
	v_pk_add_f16 v7, v15, v7 op_sel_hi:[0,1]
	v_pk_fma_f16 v8, v43, s6, v8 op_sel_hi:[0,1,1]
	s_mov_b32 s7, 0xb8d2bbdd
	v_pk_add_f16 v7, v7, v8
	s_mov_b32 s6, 0xba6231e1
	v_pk_mul_f16 v8, v44, s7 op_sel_hi:[0,1]
	v_pk_fma_f16 v8, v45, s6, v8 op_sel_hi:[0,1,1]
	s_mov_b32 s7, 0xbbddb461
	v_pk_add_f16 v7, v7, v8
	s_mov_b32 s6, 0xb1e13bb2
	v_pk_mul_f16 v8, v46, s7 op_sel_hi:[0,1]
	;; [unrolled: 5-line block ×6, first 2 shown]
	v_pk_fma_f16 v8, v55, s6, v8 op_sel_hi:[0,1,1]
	v_pk_add_f16 v57, v58, v57
	v_pk_add_f16 v7, v8, v7
	v_perm_b32 v42, v56, v0, s18
	v_alignbit_b32 v43, v57, v56, 16
	v_alignbit_b32 v45, v91, v7, 16
	;; [unrolled: 1-line block ×3, first 2 shown]
	ds_write_b128 v87, v[42:45] offset:18
.LBB0_13:
	s_or_b64 exec, exec, s[2:3]
	v_sub_f16_e32 v57, v4, v41
	s_mov_b32 s2, 0xb1e1b836
	v_add_f16_e32 v42, v17, v26
	v_sub_f16_e32 v50, v9, v40
	v_sub_f16_e32 v56, v33, v34
	s_mov_b32 s6, 0xbbddbacd
	v_pk_mul_f16 v34, v57, s2 op_sel_hi:[0,1]
	s_mov_b32 s2, 0x35c83b29
	v_add_f16_e32 v43, v18, v27
	v_sub_f16_e32 v51, v10, v39
	v_sub_f16_e32 v55, v14, v35
	s_mov_b32 s7, 0x3b763722
	v_pk_mul_f16 v35, v50, s2 op_sel_hi:[0,1]
	s_mov_b32 s2, 0xb836bbf7
	v_pk_fma_f16 v4, v42, s6, v34 op_sel_hi:[0,1,1] neg_lo:[0,0,1] neg_hi:[0,0,1]
	v_add_f16_e32 v44, v19, v28
	v_sub_f16_e32 v52, v11, v38
	v_sub_f16_e32 v54, v13, v36
	s_mov_b32 s8, 0xbacd2de8
	v_pk_mul_f16 v36, v51, s2 op_sel_hi:[0,1]
	s_mov_b32 s2, 0x39643a62
	v_pk_add_f16 v4, v16, v4 op_sel_hi:[0,1]
	v_pk_fma_f16 v7, v43, s7, v35 op_sel_hi:[0,1,1] neg_lo:[0,0,1] neg_hi:[0,0,1]
	v_add_f16_e32 v45, v20, v29
	v_sub_f16_e32 v53, v12, v37
	s_mov_b32 s9, 0x39e9b8d2
	v_pk_mul_f16 v37, v52, s2 op_sel_hi:[0,1]
	s_mov_b32 s2, 0xba62b5c8
	v_pk_add_f16 v4, v4, v7
	v_pk_fma_f16 v7, v44, s8, v36 op_sel_hi:[0,1,1] neg_lo:[0,0,1] neg_hi:[0,0,1]
	v_add_f16_e32 v46, v21, v30
	s_mov_b32 s14, 0xb8d23b76
	v_pk_mul_f16 v38, v53, s2 op_sel_hi:[0,1]
	s_mov_b32 s2, 0x3b29b1e1
	v_pk_add_f16 v4, v4, v7
	v_pk_fma_f16 v7, v45, s9, v37 op_sel_hi:[0,1,1] neg_lo:[0,0,1] neg_hi:[0,0,1]
	v_add_f16_e32 v47, v22, v31
	;; [unrolled: 6-line block ×3, first 2 shown]
	s_mov_b32 s16, 0xb46139e9
	v_pk_mul_f16 v40, v55, s2 op_sel_hi:[0,1]
	v_pk_add_f16 v4, v4, v7
	v_pk_fma_f16 v7, v47, s15, v39 op_sel_hi:[0,1,1] neg_lo:[0,0,1] neg_hi:[0,0,1]
	v_pk_add_f16 v4, v4, v7
	v_pk_fma_f16 v7, v48, s16, v40 op_sel_hi:[0,1,1] neg_lo:[0,0,1] neg_hi:[0,0,1]
	v_pk_add_f16 v4, v4, v7
	v_lshl_add_u32 v7, v3, 1, 0
	s_waitcnt lgkmcnt(0)
	s_barrier
	ds_read_u16 v8, v7
	ds_read_u16 v33, v7 offset:204
	ds_read_u16 v15, v7 offset:408
	;; [unrolled: 1-line block ×8, first 2 shown]
	s_mov_b32 s2, 0x3bf7bbb2
	v_add_f16_e32 v49, v24, v25
	s_mov_b32 s17, 0x2de8b461
	v_pk_mul_f16 v41, v56, s2 op_sel_hi:[0,1]
	v_pk_fma_f16 v58, v49, s17, v41 op_sel_hi:[0,1,1] neg_lo:[0,0,1] neg_hi:[0,0,1]
	v_pk_add_f16 v4, v58, v4
	s_waitcnt lgkmcnt(0)
	s_barrier
	s_and_saveexec_b64 s[2:3], s[0:1]
	s_cbranch_execz .LBB0_15
; %bb.14:
	s_mov_b32 s0, 0x5040100
	v_perm_b32 v59, v16, v16, s0
	v_add_f16_e32 v16, v16, v17
	v_add_f16_e32 v16, v16, v18
	;; [unrolled: 1-line block ×13, first 2 shown]
	v_pack_b32_f16 v57, v57, v57
	v_add_f16_e32 v16, v28, v16
	s_mov_b32 s1, 0xb964b5c8
	v_pack_b32_f16 v58, v42, v42
	v_pack_b32_f16 v50, v50, v50
	v_pk_mul_f16 v42, v42, s6 op_sel_hi:[0,1]
	v_add_f16_e32 v16, v27, v16
	s_mov_b32 s0, 0x39e93b76
	v_pk_mul_f16 v17, v57, s1
	s_mov_b32 s6, 0xbbf7b964
	v_pack_b32_f16 v60, v43, v43
	v_add_f16_e32 v20, v26, v16
	v_pk_fma_f16 v16, v58, s0, v17
	s_mov_b32 s1, 0x2de839e9
	v_pk_mul_f16 v18, v50, s6
	v_pack_b32_f16 v51, v51, v51
	v_pk_mul_f16 v43, v43, s7 op_sel_hi:[0,1]
	v_pk_add_f16 v16, v59, v16
	v_pk_fma_f16 v19, v60, s1, v18
	s_mov_b32 s7, 0xba62bb29
	v_pack_b32_f16 v61, v44, v44
	v_pk_add_f16 v16, v16, v19
	s_mov_b32 s6, 0xb8d23722
	v_pk_mul_f16 v19, v51, s7
	v_pack_b32_f16 v52, v52, v52
	v_pk_mul_f16 v44, v44, s8 op_sel_hi:[0,1]
	v_pk_fma_f16 v21, v61, s6, v19
	s_mov_b32 s8, 0xb1e1bbf7
	v_pack_b32_f16 v62, v45, v45
	v_pk_add_f16 v16, v16, v21
	s_mov_b32 s7, 0xbbdd2de8
	v_pk_mul_f16 v21, v52, s8
	v_pack_b32_f16 v53, v53, v53
	v_pk_mul_f16 v45, v45, s9 op_sel_hi:[0,1]
	v_pk_fma_f16 v22, v62, s7, v21
	s_mov_b32 s9, 0x3836bbb2
	v_pack_b32_f16 v63, v46, v46
	v_pk_add_f16 v16, v16, v22
	s_mov_b32 s8, 0xbacdb461
	v_pk_mul_f16 v22, v53, s9
	v_pk_fma_f16 v17, v58, s0, v17 neg_lo:[0,0,1] neg_hi:[0,0,1]
	v_pack_b32_f16 v54, v54, v54
	v_pk_mul_f16 v46, v46, s14 op_sel_hi:[0,1]
	v_pk_fma_f16 v23, v63, s8, v22
	s_mov_b32 s14, 0x3bb2ba62
	v_pk_add_f16 v17, v59, v17
	v_pk_fma_f16 v18, v60, s1, v18 neg_lo:[0,0,1] neg_hi:[0,0,1]
	v_pack_b32_f16 v64, v47, v47
	v_pk_add_f16 v16, v16, v23
	s_mov_b32 s9, 0xb461b8d2
	v_pk_mul_f16 v23, v54, s14
	v_pk_add_f16 v17, v17, v18
	v_pk_fma_f16 v18, v61, s6, v19 neg_lo:[0,0,1] neg_hi:[0,0,1]
	v_pack_b32_f16 v55, v55, v55
	v_pk_mul_f16 v47, v47, s15 op_sel_hi:[0,1]
	v_pk_fma_f16 v24, v64, s9, v23
	s_mov_b32 s15, 0x3b29b836
	v_pk_add_f16 v17, v17, v18
	v_pk_fma_f16 v18, v62, s7, v21 neg_lo:[0,0,1] neg_hi:[0,0,1]
	v_pack_b32_f16 v65, v48, v48
	v_pk_add_f16 v16, v16, v24
	s_mov_b32 s14, 0x3722bacd
	v_pk_mul_f16 v24, v55, s15
	v_pk_add_f16 v17, v17, v18
	;; [unrolled: 12-line block ×3, first 2 shown]
	v_pk_fma_f16 v18, v65, s14, v24 neg_lo:[0,0,1] neg_hi:[0,0,1]
	v_pk_add_f16 v17, v17, v18
	v_pk_fma_f16 v18, v66, s15, v25 neg_lo:[0,0,1] neg_hi:[0,0,1]
	s_mov_b32 s1, 0xbbf7bb29
	v_pk_add_f16 v21, v18, v17
	s_mov_b32 s0, 0x2de83722
	v_pk_mul_f16 v18, v57, s1
	s_mov_b32 s6, 0xb1e1ba62
	v_pk_fma_f16 v17, v58, s0, v18
	s_mov_b32 s1, 0xbbddb8d2
	v_pk_mul_f16 v19, v50, s6
	v_pk_add_f16 v17, v59, v17
	v_pk_fma_f16 v22, v60, s1, v19
	s_mov_b32 s7, 0x3bb231e1
	v_pk_add_f16 v17, v17, v22
	s_mov_b32 s6, 0xb461bbdd
	v_pk_mul_f16 v22, v51, s7
	v_pk_fma_f16 v23, v61, s6, v22
	s_mov_b32 s8, 0x35c83bb2
	v_pk_add_f16 v17, v17, v23
	s_mov_b32 s7, 0x3b76b461
	v_pk_mul_f16 v23, v52, s8
	;; [unrolled: 5-line block ×3, first 2 shown]
	v_pk_fma_f16 v18, v58, s0, v18 neg_lo:[0,0,1] neg_hi:[0,0,1]
	v_pk_fma_f16 v26, v66, s15, v25
	v_pk_fma_f16 v25, v63, s8, v24
	s_mov_b32 s14, 0xb836b5c8
	v_pk_add_f16 v18, v59, v18
	v_pk_fma_f16 v19, v60, s1, v19 neg_lo:[0,0,1] neg_hi:[0,0,1]
	v_pk_add_f16 v17, v17, v25
	s_mov_b32 s9, 0xbacd3b76
	v_pk_mul_f16 v25, v54, s14
	v_pk_add_f16 v18, v18, v19
	v_pk_fma_f16 v19, v61, s6, v22 neg_lo:[0,0,1] neg_hi:[0,0,1]
	v_pk_add_f16 v16, v26, v16
	v_pk_fma_f16 v26, v64, s9, v25
	s_mov_b32 s15, 0x3a62bbf7
	v_pk_add_f16 v18, v18, v19
	v_pk_fma_f16 v19, v62, s7, v23 neg_lo:[0,0,1] neg_hi:[0,0,1]
	v_pk_add_f16 v17, v17, v26
	s_mov_b32 s14, 0xb8d22de8
	v_pk_mul_f16 v26, v55, s15
	v_pk_add_f16 v18, v18, v19
	v_pk_fma_f16 v19, v63, s8, v24 neg_lo:[0,0,1] neg_hi:[0,0,1]
	v_pk_fma_f16 v27, v65, s14, v26
	s_mov_b32 s16, 0x3964b836
	v_pk_add_f16 v18, v18, v19
	v_pk_fma_f16 v19, v64, s9, v25 neg_lo:[0,0,1] neg_hi:[0,0,1]
	v_pk_add_f16 v17, v17, v27
	s_mov_b32 s15, 0x39e9bacd
	v_pk_mul_f16 v27, v56, s16
	v_pk_add_f16 v18, v18, v19
	v_pk_fma_f16 v19, v65, s14, v26 neg_lo:[0,0,1] neg_hi:[0,0,1]
	v_pk_add_f16 v18, v18, v19
	v_pk_fma_f16 v19, v66, s15, v27 neg_lo:[0,0,1] neg_hi:[0,0,1]
	s_mov_b32 s1, 0xba62bbb2
	v_pk_add_f16 v22, v19, v18
	s_mov_b32 s0, 0xb8d2b461
	v_pk_mul_f16 v19, v57, s1
	s_mov_b32 s6, 0x3bb23836
	v_pk_fma_f16 v18, v58, s0, v19
	s_mov_b32 s1, 0xb461bacd
	v_pk_mul_f16 v23, v50, s6
	v_pk_add_f16 v18, v59, v18
	v_pk_fma_f16 v24, v60, s1, v23
	s_mov_b32 s7, 0xb5c83964
	v_pk_add_f16 v18, v18, v24
	s_mov_b32 s6, 0x3b7639e9
	v_pk_mul_f16 v24, v51, s7
	v_pk_fma_f16 v25, v61, s6, v24
	s_mov_b32 s8, 0xb836bb29
	v_pk_add_f16 v18, v18, v25
	s_mov_b32 s7, 0xbacd3722
	v_pk_mul_f16 v25, v52, s8
	;; [unrolled: 5-line block ×3, first 2 shown]
	v_pk_fma_f16 v19, v58, s0, v19 neg_lo:[0,0,1] neg_hi:[0,0,1]
	v_pk_fma_f16 v28, v66, s15, v27
	v_pk_fma_f16 v27, v63, s8, v26
	s_mov_b32 s14, 0xb9643bf7
	v_pk_add_f16 v19, v59, v19
	v_pk_fma_f16 v23, v60, s1, v23 neg_lo:[0,0,1] neg_hi:[0,0,1]
	v_pk_add_f16 v18, v18, v27
	s_mov_b32 s9, 0x39e92de8
	v_pk_mul_f16 v27, v54, s14
	v_pk_add_f16 v19, v19, v23
	v_pk_fma_f16 v23, v61, s6, v24 neg_lo:[0,0,1] neg_hi:[0,0,1]
	v_pk_add_f16 v17, v28, v17
	v_pk_fma_f16 v28, v64, s9, v27
	s_mov_b32 s15, 0xb1e1b5c8
	v_pk_add_f16 v19, v19, v23
	v_pk_fma_f16 v23, v62, s7, v25 neg_lo:[0,0,1] neg_hi:[0,0,1]
	v_pk_add_f16 v18, v18, v28
	s_mov_b32 s14, 0xbbdd3b76
	v_pk_mul_f16 v28, v55, s15
	v_pk_add_f16 v19, v19, v23
	v_pk_fma_f16 v23, v63, s8, v26 neg_lo:[0,0,1] neg_hi:[0,0,1]
	v_pk_fma_f16 v29, v65, s14, v28
	s_mov_b32 s16, 0x3b29ba62
	v_pk_add_f16 v19, v19, v23
	v_pk_fma_f16 v23, v64, s9, v27 neg_lo:[0,0,1] neg_hi:[0,0,1]
	v_pk_add_f16 v18, v18, v29
	s_mov_b32 s15, 0x3722b8d2
	v_pk_mul_f16 v29, v56, s16
	v_pk_add_f16 v19, v19, v23
	v_pk_fma_f16 v23, v65, s14, v28 neg_lo:[0,0,1] neg_hi:[0,0,1]
	v_pk_add_f16 v19, v19, v23
	v_pk_fma_f16 v23, v66, s15, v29 neg_lo:[0,0,1] neg_hi:[0,0,1]
	v_pk_add_f16 v23, v23, v19
	v_pk_add_f16 v19, v42, v34
	;; [unrolled: 1-line block ×12, first 2 shown]
	v_pk_mul_f16 v49, v49, s17 op_sel_hi:[0,1]
	v_pk_add_f16 v19, v19, v24
	v_pk_add_f16 v24, v48, v40
	v_pk_fma_f16 v30, v66, s15, v29
	v_pk_add_f16 v19, v19, v24
	v_pk_add_f16 v24, v49, v41
	;; [unrolled: 1-line block ×4, first 2 shown]
	v_lshl_add_u32 v24, v3, 5, v7
	ds_write_b16 v24, v20
	ds_write_b128 v24, v[16:19] offset:2
	v_alignbit_b32 v16, v4, v4, 16
	v_alignbit_b32 v17, v23, v23, 16
	;; [unrolled: 1-line block ×4, first 2 shown]
	ds_write_b128 v24, v[16:19] offset:18
.LBB0_15:
	s_or_b64 exec, exec, s[2:3]
	s_movk_i32 s0, 0xf1
	v_mul_lo_u16_sdwa v16, v3, s0 dst_sel:DWORD dst_unused:UNUSED_PAD src0_sel:BYTE_0 src1_sel:DWORD
	v_lshrrev_b16_e32 v21, 12, v16
	v_mul_lo_u16_e32 v16, 17, v21
	v_sub_u16_e32 v38, v3, v16
	v_mov_b32_e32 v16, 5
	v_lshlrev_b32_sdwa v16, v16, v38 dst_sel:DWORD dst_unused:UNUSED_PAD src0_sel:DWORD src1_sel:BYTE_0
	s_load_dwordx2 s[4:5], s[4:5], 0x0
	s_waitcnt lgkmcnt(0)
	s_barrier
	global_load_dwordx4 v[17:20], v16, s[12:13]
	global_load_dwordx4 v[34:37], v16, s[12:13] offset:16
	ds_read_u16 v16, v7
	ds_read_u16 v22, v7 offset:204
	ds_read_u16 v23, v7 offset:408
	ds_read_u16 v25, v7 offset:612
	ds_read_u16 v31, v7 offset:816
	ds_read_u16 v32, v7 offset:1020
	ds_read_u16 v39, v7 offset:1224
	ds_read_u16 v40, v7 offset:1428
	ds_read_u16 v41, v7 offset:1632
	s_movk_i32 s16, 0x3be1
	s_movk_i32 s7, 0x3aee
	;; [unrolled: 1-line block ×3, first 2 shown]
	s_mov_b32 s17, 0xbaee
	s_mov_b32 s15, 0xb924
	s_movk_i32 s6, 0x3a21
	s_movk_i32 s8, 0x318f
	s_mov_b32 s14, 0xbb84
	s_waitcnt vmcnt(0) lgkmcnt(0)
	s_barrier
	v_cmp_gt_u32_e64 s[0:1], 51, v3
	v_mul_f16_sdwa v26, v33, v17 dst_sel:DWORD dst_unused:UNUSED_PAD src0_sel:DWORD src1_sel:WORD_1
	v_mul_f16_sdwa v29, v15, v18 dst_sel:DWORD dst_unused:UNUSED_PAD src0_sel:DWORD src1_sel:WORD_1
	;; [unrolled: 1-line block ×9, first 2 shown]
	v_fma_f16 v28, v22, v17, v26
	v_fma_f16 v29, v23, v18, v29
	v_fma_f16 v12, v12, v34, -v45
	v_fma_f16 v23, v32, v34, v46
	v_fma_f16 v34, v41, v37, v52
	v_mul_f16_sdwa v30, v25, v19 dst_sel:DWORD dst_unused:UNUSED_PAD src0_sel:DWORD src1_sel:WORD_1
	v_mul_f16_sdwa v42, v14, v19 dst_sel:DWORD dst_unused:UNUSED_PAD src0_sel:DWORD src1_sel:WORD_1
	;; [unrolled: 1-line block ×5, first 2 shown]
	v_fma_f16 v24, v33, v17, -v24
	v_fma_f16 v22, v31, v20, v44
	v_fma_f16 v33, v40, v36, v50
	v_sub_f16_e32 v17, v28, v34
	v_mul_f16_sdwa v51, v41, v37 dst_sel:DWORD dst_unused:UNUSED_PAD src0_sel:DWORD src1_sel:WORD_1
	v_fma_f16 v26, v15, v18, -v27
	v_fma_f16 v27, v14, v19, -v30
	v_fma_f16 v30, v25, v19, v42
	v_fma_f16 v25, v13, v20, -v43
	v_fma_f16 v31, v11, v35, -v47
	v_fma_f16 v32, v39, v35, v48
	v_sub_f16_e32 v18, v29, v33
	v_sub_f16_e32 v20, v22, v23
	v_mul_f16_e32 v11, 0x3924, v17
	v_fma_f16 v9, v9, v37, -v51
	v_sub_f16_e32 v19, v30, v32
	v_mul_f16_e32 v37, 0xb924, v20
	v_fma_f16 v11, v18, s16, v11
	v_mul_f16_sdwa v49, v40, v36 dst_sel:DWORD dst_unused:UNUSED_PAD src0_sel:DWORD src1_sel:WORD_1
	v_fma_f16 v37, v17, s16, v37
	v_fma_f16 v11, v19, s7, v11
	v_fma_f16 v10, v10, v36, -v49
	v_add_f16_e32 v40, v20, v17
	v_fma_f16 v37, v19, s17, v37
	v_fma_f16 v11, v20, s9, v11
	v_mul_f16_e32 v20, 0x3be1, v20
	v_add_f16_e32 v13, v24, v9
	v_add_f16_e32 v14, v26, v10
	v_sub_f16_e32 v40, v40, v18
	v_fma_f16 v37, v18, s9, v37
	v_fma_f16 v18, v18, s15, -v20
	v_add_f16_e32 v15, v27, v31
	v_add_f16_e32 v42, v14, v13
	v_fma_f16 v18, v19, s7, v18
	v_fma_f16 v17, v17, s9, v18
	v_add_f16_e32 v18, v15, v42
	v_add_f16_e32 v18, v25, v18
	;; [unrolled: 1-line block ×4, first 2 shown]
	v_fma_f16 v36, v13, s6, v8
	v_fma_f16 v39, v35, s6, v8
	v_add_f16_e32 v41, v8, v15
	v_add_f16_e32 v18, v8, v18
	v_fma_f16 v8, v14, s6, v8
	v_fma_f16 v8, v35, s8, v8
	;; [unrolled: 1-line block ×4, first 2 shown]
	v_fma_f16 v8, v15, -0.5, v8
	v_fma_f16 v36, v15, -0.5, v36
	v_fma_f16 v39, v15, -0.5, v39
	v_add_f16_e32 v44, v35, v42
	v_fma_f16 v8, v13, s14, v8
	v_mov_b32_e32 v15, 1
	v_fma_f16 v36, v35, s14, v36
	v_fma_f16 v39, v14, s14, v39
	v_fma_f16 v41, v44, -0.5, v41
	v_add_f16_e32 v13, v17, v8
	v_mul_u32_u24_e32 v8, 0x132, v21
	v_lshlrev_b32_sdwa v15, v15, v38 dst_sel:DWORD dst_unused:UNUSED_PAD src0_sel:DWORD src1_sel:BYTE_0
	v_mul_f16_e32 v43, 0x3aee, v40
	v_add_f16_e32 v36, v11, v36
	v_add_f16_e32 v39, v37, v39
	v_fma_f16 v40, v40, s7, v41
	v_fma_f16 v14, v17, -2.0, v13
	v_add3_u32 v8, 0, v8, v15
	v_fma_f16 v11, v11, -2.0, v36
	v_fma_f16 v37, v37, -2.0, v39
	;; [unrolled: 1-line block ×3, first 2 shown]
	ds_write_b16 v8, v18
	ds_write_b16 v8, v36 offset:34
	ds_write_b16 v8, v39 offset:68
	;; [unrolled: 1-line block ×8, first 2 shown]
	s_waitcnt lgkmcnt(0)
	s_barrier
	ds_read_u16 v20, v7
	ds_read_u16 v19, v7 offset:204
	ds_read_u16 v18, v7 offset:408
	;; [unrolled: 1-line block ×7, first 2 shown]
	s_and_saveexec_b64 s[2:3], s[0:1]
	s_cbranch_execz .LBB0_17
; %bb.16:
	ds_read_u16 v11, v7 offset:816
	ds_read_u16 v0, v7 offset:1734
.LBB0_17:
	s_or_b64 exec, exec, s[2:3]
	v_sub_f16_e32 v9, v24, v9
	v_sub_f16_e32 v10, v26, v10
	v_mul_f16_e32 v26, 0x3924, v9
	v_sub_f16_e32 v25, v25, v12
	v_sub_f16_e32 v24, v27, v31
	v_fma_f16 v26, v10, s16, v26
	v_mul_f16_e32 v31, 0xb924, v25
	v_fma_f16 v26, v24, s7, v26
	v_fma_f16 v31, v9, s16, v31
	v_add_f16_e32 v29, v29, v33
	v_fma_f16 v12, v25, s9, v26
	v_fma_f16 v31, v24, s17, v31
	v_add_f16_e32 v33, v25, v9
	v_mul_f16_e32 v25, 0x3be1, v25
	v_add_f16_e32 v28, v28, v34
	v_fma_f16 v31, v10, s9, v31
	v_sub_f16_e32 v33, v33, v10
	v_fma_f16 v10, v10, s15, -v25
	v_add_f16_e32 v30, v30, v32
	v_add_f16_e32 v36, v29, v28
	v_fma_f16 v10, v24, s7, v10
	v_fma_f16 v9, v9, s9, v10
	v_add_f16_e32 v10, v30, v36
	v_add_f16_e32 v10, v22, v10
	;; [unrolled: 1-line block ×4, first 2 shown]
	v_fma_f16 v26, v28, s6, v16
	v_fma_f16 v32, v27, s6, v16
	v_add_f16_e32 v35, v16, v30
	v_add_f16_e32 v10, v16, v10
	v_fma_f16 v16, v29, s6, v16
	v_fma_f16 v26, v29, s8, v26
	;; [unrolled: 1-line block ×4, first 2 shown]
	v_fma_f16 v26, v30, -0.5, v26
	v_fma_f16 v32, v30, -0.5, v32
	v_add_f16_e32 v37, v27, v36
	v_fma_f16 v16, v30, -0.5, v16
	v_fma_f16 v26, v27, s14, v26
	v_fma_f16 v32, v29, s14, v32
	v_fma_f16 v35, v37, -0.5, v35
	v_fma_f16 v16, v28, s14, v16
	v_sub_f16_e32 v26, v26, v12
	v_sub_f16_e32 v32, v32, v31
	v_mul_f16_e32 v34, 0x3aee, v33
	v_fma_f16 v33, v33, s17, v35
	v_sub_f16_e32 v16, v16, v9
	v_fma_f16 v12, v12, 2.0, v26
	v_fma_f16 v31, v31, 2.0, v32
	;; [unrolled: 1-line block ×4, first 2 shown]
	s_waitcnt lgkmcnt(0)
	s_barrier
	ds_write_b16 v8, v10
	ds_write_b16 v8, v26 offset:34
	ds_write_b16 v8, v32 offset:68
	;; [unrolled: 1-line block ×8, first 2 shown]
	s_waitcnt lgkmcnt(0)
	s_barrier
	ds_read_u16 v22, v7
	ds_read_u16 v23, v7 offset:204
	ds_read_u16 v24, v7 offset:408
	;; [unrolled: 1-line block ×7, first 2 shown]
	v_lshrrev_b32_e32 v16, 16, v4
	s_and_saveexec_b64 s[2:3], s[0:1]
	s_cbranch_execz .LBB0_19
; %bb.18:
	ds_read_u16 v12, v7 offset:816
	ds_read_u16 v16, v7 offset:1734
.LBB0_19:
	s_or_b64 exec, exec, s[2:3]
	v_mov_b32_e32 v4, 0
	v_lshlrev_b64 v[30:31], 2, v[3:4]
	v_add_u32_e32 v9, 0x66, v3
	v_add_co_u32_e64 v32, s[2:3], s12, v30
	v_subrev_u32_e32 v30, 51, v3
	v_cndmask_b32_e64 v36, v30, v9, s[0:1]
	v_mov_b32_e32 v37, v4
	v_mov_b32_e32 v38, s13
	v_lshlrev_b64 v[34:35], 2, v[36:37]
	v_addc_co_u32_e64 v33, s[2:3], v38, v31, s[2:3]
	v_add_co_u32_e64 v37, s[2:3], s12, v34
	v_addc_co_u32_e64 v38, s[2:3], v38, v35, s[2:3]
	v_add_u32_e32 v10, 0x132, v3
	s_movk_i32 s2, 0x358b
	v_mul_u32_u24_sdwa v4, v10, s2 dst_sel:DWORD dst_unused:UNUSED_PAD src0_sel:WORD_0 src1_sel:DWORD
	v_lshrrev_b32_e32 v4, 21, v4
	v_add_u32_e32 v8, 0x198, v3
	v_mul_lo_u16_e32 v4, 0x99, v4
	v_sub_u16_e32 v39, v10, v4
	v_mul_u32_u24_sdwa v4, v8, s2 dst_sel:DWORD dst_unused:UNUSED_PAD src0_sel:WORD_0 src1_sel:DWORD
	v_lshrrev_b32_e32 v4, 21, v4
	v_mul_lo_u16_e32 v4, 0x99, v4
	global_load_dword v31, v[32:33], off offset:544
	v_sub_u16_e32 v41, v8, v4
	v_lshlrev_b32_e32 v40, 2, v39
	v_lshlrev_b32_e32 v42, 2, v41
	global_load_dword v34, v[37:38], off offset:544
	global_load_dword v4, v40, s[12:13] offset:544
	global_load_dword v30, v42, s[12:13] offset:544
	global_load_dword v35, v[32:33], off offset:748
	v_mov_b32_e32 v32, 0x264
	v_cmp_lt_u32_e64 s[2:3], 50, v3
	v_cndmask_b32_e64 v32, 0, v32, s[2:3]
	v_lshlrev_b32_e32 v33, 1, v36
	v_add3_u32 v32, 0, v32, v33
	v_lshl_add_u32 v33, v39, 1, 0
	s_waitcnt vmcnt(0) lgkmcnt(0)
	s_barrier
	v_mul_f16_sdwa v36, v29, v31 dst_sel:DWORD dst_unused:UNUSED_PAD src0_sel:DWORD src1_sel:WORD_1
	v_fma_f16 v36, v17, v31, -v36
	v_mul_f16_sdwa v37, v28, v34 dst_sel:DWORD dst_unused:UNUSED_PAD src0_sel:DWORD src1_sel:WORD_1
	v_mul_f16_sdwa v39, v27, v4 dst_sel:DWORD dst_unused:UNUSED_PAD src0_sel:DWORD src1_sel:WORD_1
	;; [unrolled: 1-line block ×3, first 2 shown]
	v_fma_f16 v37, v15, v34, -v37
	v_sub_f16_e32 v36, v20, v36
	v_fma_f16 v38, v13, v35, -v38
	v_fma_f16 v39, v14, v4, -v39
	v_fma_f16 v20, v20, 2.0, -v36
	v_sub_f16_e32 v37, v19, v37
	ds_write_b16 v7, v36 offset:306
	v_sub_f16_e32 v36, v18, v38
	v_sub_f16_e32 v38, v21, v39
	v_fma_f16 v19, v19, 2.0, -v37
	ds_write_b16 v7, v20
	ds_write_b16 v32, v37 offset:306
	v_fma_f16 v20, v21, 2.0, -v38
	v_lshl_add_u32 v21, v41, 1, 0
	v_fma_f16 v18, v18, 2.0, -v36
	ds_write_b16 v32, v19
	ds_write_b16 v7, v36 offset:1020
	ds_write_b16 v33, v38 offset:1530
	ds_write_b16 v7, v18 offset:714
	ds_write_b16 v33, v20 offset:1224
	s_and_saveexec_b64 s[2:3], s[0:1]
	s_cbranch_execz .LBB0_21
; %bb.20:
	v_mul_f16_sdwa v18, v16, v30 dst_sel:DWORD dst_unused:UNUSED_PAD src0_sel:DWORD src1_sel:WORD_1
	v_fma_f16 v18, v0, v30, -v18
	v_sub_f16_e32 v18, v11, v18
	v_fma_f16 v11, v11, 2.0, -v18
	ds_write_b16 v21, v11 offset:1224
	ds_write_b16 v21, v18 offset:1530
.LBB0_21:
	s_or_b64 exec, exec, s[2:3]
	v_mul_f16_sdwa v11, v17, v31 dst_sel:DWORD dst_unused:UNUSED_PAD src0_sel:DWORD src1_sel:WORD_1
	v_mul_f16_sdwa v15, v15, v34 dst_sel:DWORD dst_unused:UNUSED_PAD src0_sel:DWORD src1_sel:WORD_1
	;; [unrolled: 1-line block ×4, first 2 shown]
	v_fma_f16 v11, v29, v31, v11
	v_fma_f16 v15, v28, v34, v15
	;; [unrolled: 1-line block ×4, first 2 shown]
	v_sub_f16_e32 v26, v22, v11
	v_sub_f16_e32 v27, v23, v15
	;; [unrolled: 1-line block ×4, first 2 shown]
	s_waitcnt lgkmcnt(0)
	s_barrier
	ds_read_u16 v4, v7
	ds_read_u16 v13, v7 offset:204
	ds_read_u16 v17, v7 offset:816
	;; [unrolled: 1-line block ×8, first 2 shown]
	v_fma_f16 v22, v22, 2.0, -v26
	v_fma_f16 v23, v23, 2.0, -v27
	;; [unrolled: 1-line block ×4, first 2 shown]
	s_waitcnt lgkmcnt(0)
	s_barrier
	ds_write_b16 v7, v22
	ds_write_b16 v7, v26 offset:306
	ds_write_b16 v32, v23
	ds_write_b16 v32, v27 offset:306
	ds_write_b16 v7, v24 offset:714
	;; [unrolled: 1-line block ×5, first 2 shown]
	s_and_saveexec_b64 s[2:3], s[0:1]
	s_cbranch_execz .LBB0_23
; %bb.22:
	v_mul_f16_sdwa v0, v0, v30 dst_sel:DWORD dst_unused:UNUSED_PAD src0_sel:DWORD src1_sel:WORD_1
	v_fma_f16 v0, v16, v30, v0
	v_sub_f16_e32 v0, v12, v0
	v_fma_f16 v12, v12, 2.0, -v0
	ds_write_b16 v21, v12 offset:1224
	ds_write_b16 v21, v0 offset:1530
.LBB0_23:
	s_or_b64 exec, exec, s[2:3]
	s_waitcnt lgkmcnt(0)
	s_barrier
	s_and_saveexec_b64 s[0:1], vcc
	s_cbranch_execz .LBB0_25
; %bb.24:
	v_add_u32_e32 v16, 0xcc, v3
	v_lshlrev_b32_e32 v21, 1, v16
	v_mov_b32_e32 v22, 0
	v_lshlrev_b64 v[23:24], 2, v[21:22]
	v_lshlrev_b32_e32 v21, 1, v9
	v_mov_b32_e32 v0, s13
	v_add_co_u32_e32 v23, vcc, s12, v23
	v_lshlrev_b64 v[25:26], 2, v[21:22]
	v_addc_co_u32_e32 v24, vcc, v0, v24, vcc
	v_lshlrev_b32_e32 v21, 1, v3
	v_add_co_u32_e32 v25, vcc, s12, v25
	v_lshlrev_b64 v[21:22], 2, v[21:22]
	global_load_dwordx2 v[23:24], v[23:24], off offset:1156
	v_addc_co_u32_e32 v26, vcc, v0, v26, vcc
	global_load_dwordx2 v[25:26], v[25:26], off offset:1156
	v_add_co_u32_e32 v21, vcc, s12, v21
	v_addc_co_u32_e32 v22, vcc, v0, v22, vcc
	global_load_dwordx2 v[21:22], v[21:22], off offset:1156
	ds_read_u16 v27, v7 offset:1632
	v_mul_lo_u32 v0, s5, v5
	v_mul_lo_u32 v12, s4, v6
	v_mad_u64_u32 v[5:6], s[0:1], s4, v5, 0
	ds_read_u16 v28, v7 offset:1428
	ds_read_u16 v29, v7 offset:1224
	;; [unrolled: 1-line block ×7, first 2 shown]
	ds_read_u16 v7, v7
	s_movk_i32 s2, 0x3aee
	v_add3_u32 v6, v6, v12, v0
	s_mov_b32 s3, 0xbaee
	s_waitcnt vmcnt(2) lgkmcnt(5)
	v_mul_f16_sdwa v0, v30, v23 dst_sel:DWORD dst_unused:UNUSED_PAD src0_sel:DWORD src1_sel:WORD_1
	v_mul_f16_sdwa v12, v27, v24 dst_sel:DWORD dst_unused:UNUSED_PAD src0_sel:DWORD src1_sel:WORD_1
	;; [unrolled: 1-line block ×4, first 2 shown]
	v_fma_f16 v0, v19, v23, -v0
	v_fma_f16 v12, v20, v24, -v12
	v_fma_f16 v19, v23, v30, v35
	v_fma_f16 v20, v24, v27, v36
	s_waitcnt vmcnt(1) lgkmcnt(4)
	v_mul_f16_sdwa v23, v31, v25 dst_sel:DWORD dst_unused:UNUSED_PAD src0_sel:DWORD src1_sel:WORD_1
	v_mul_f16_sdwa v24, v28, v26 dst_sel:DWORD dst_unused:UNUSED_PAD src0_sel:DWORD src1_sel:WORD_1
	;; [unrolled: 1-line block ×4, first 2 shown]
	v_sub_f16_e32 v35, v0, v12
	v_add_f16_e32 v36, v19, v20
	v_add_f16_e32 v37, v0, v12
	v_sub_f16_e32 v38, v19, v20
	s_waitcnt lgkmcnt(2)
	v_add_f16_e32 v19, v19, v33
	v_add_f16_e32 v0, v15, v0
	v_fma_f16 v17, v17, v25, -v23
	v_fma_f16 v18, v18, v26, -v24
	v_fma_f16 v23, v25, v31, v27
	v_fma_f16 v24, v26, v28, v30
	s_waitcnt vmcnt(0)
	v_mul_f16_sdwa v25, v32, v21 dst_sel:DWORD dst_unused:UNUSED_PAD src0_sel:DWORD src1_sel:WORD_1
	v_mul_f16_sdwa v26, v29, v22 dst_sel:DWORD dst_unused:UNUSED_PAD src0_sel:DWORD src1_sel:WORD_1
	v_add_f16_e32 v19, v20, v19
	v_add_f16_e32 v20, v0, v12
	;; [unrolled: 1-line block ×3, first 2 shown]
	v_mul_f16_sdwa v27, v14, v21 dst_sel:DWORD dst_unused:UNUSED_PAD src0_sel:DWORD src1_sel:WORD_1
	v_sub_f16_e32 v0, v17, v18
	v_add_f16_e32 v30, v17, v18
	v_sub_f16_e32 v31, v23, v24
	s_waitcnt lgkmcnt(1)
	v_add_f16_e32 v23, v23, v34
	v_fma_f16 v14, v14, v21, -v25
	v_fma_f16 v25, v11, v22, -v26
	v_fma_f16 v12, v12, -0.5, v34
	v_add_f16_e32 v17, v13, v17
	v_fma_f16 v21, v21, v32, v27
	v_fma_f16 v13, v30, -0.5, v13
	v_add_f16_e32 v23, v24, v23
	v_fma_f16 v24, v0, s2, v12
	v_fma_f16 v32, v0, s3, v12
	v_mul_f16_sdwa v0, v11, v22 dst_sel:DWORD dst_unused:UNUSED_PAD src0_sel:DWORD src1_sel:WORD_1
	v_add_f16_e32 v11, v14, v25
	v_fma_f16 v30, v31, s3, v13
	v_fma_f16 v31, v31, s2, v13
	v_fma_f16 v13, v11, -0.5, v4
	v_mad_u64_u32 v[11:12], s[0:1], s20, v3, 0
	v_fma_f16 v22, v22, v29, v0
	v_add_f16_e32 v0, v21, v22
	v_add_f16_e32 v17, v17, v18
	v_sub_f16_e32 v18, v14, v25
	s_waitcnt lgkmcnt(0)
	v_fma_f16 v0, v0, -0.5, v7
	v_fma_f16 v28, v36, -0.5, v33
	v_fma_f16 v29, v18, s2, v0
	v_sub_f16_e32 v33, v21, v22
	v_fma_f16 v18, v18, s3, v0
	v_mov_b32_e32 v0, v12
	v_fma_f16 v34, v33, s3, v13
	v_fma_f16 v33, v33, s2, v13
	v_mad_u64_u32 v[12:13], s[0:1], s21, v3, v[0:1]
	v_add_f16_e32 v0, v4, v14
	v_lshlrev_b64 v[4:5], 2, v[5:6]
	v_add_f16_e32 v13, v0, v25
	v_mov_b32_e32 v0, s11
	v_add_co_u32_e32 v6, vcc, s10, v4
	v_addc_co_u32_e32 v14, vcc, v0, v5, vcc
	v_mad_u64_u32 v[4:5], s[0:1], s20, v10, 0
	v_lshlrev_b64 v[0:1], 2, v[1:2]
	v_add_f16_e32 v7, v21, v7
	v_add_co_u32_e32 v21, vcc, v6, v0
	v_mov_b32_e32 v2, v5
	v_addc_co_u32_e32 v14, vcc, v14, v1, vcc
	v_lshlrev_b64 v[0:1], 2, v[11:12]
	v_mad_u64_u32 v[5:6], s[0:1], s21, v10, v[2:3]
	v_add_f16_e32 v7, v22, v7
	v_add_co_u32_e32 v0, vcc, v21, v0
	v_addc_co_u32_e32 v1, vcc, v14, v1, vcc
	v_pack_b32_f16 v2, v13, v7
	v_add_u32_e32 v6, 0x264, v3
	global_store_dword v[0:1], v2, off
	v_lshlrev_b64 v[0:1], 2, v[4:5]
	v_mad_u64_u32 v[4:5], s[0:1], s20, v6, 0
	v_add_co_u32_e32 v0, vcc, v21, v0
	v_mov_b32_e32 v2, v5
	v_mad_u64_u32 v[5:6], s[0:1], s21, v6, v[2:3]
	v_addc_co_u32_e32 v1, vcc, v14, v1, vcc
	v_pack_b32_f16 v2, v33, v18
	global_store_dword v[0:1], v2, off
	v_lshlrev_b64 v[0:1], 2, v[4:5]
	v_mad_u64_u32 v[4:5], s[0:1], s20, v9, 0
	v_add_co_u32_e32 v0, vcc, v21, v0
	v_mov_b32_e32 v2, v5
	v_mad_u64_u32 v[5:6], s[0:1], s21, v9, v[2:3]
	v_mad_u64_u32 v[6:7], s[0:1], s20, v8, 0
	v_addc_co_u32_e32 v1, vcc, v14, v1, vcc
	v_pack_b32_f16 v10, v34, v29
	v_mov_b32_e32 v2, v7
	global_store_dword v[0:1], v10, off
	v_lshlrev_b64 v[0:1], 2, v[4:5]
	v_mad_u64_u32 v[4:5], s[0:1], s21, v8, v[2:3]
	v_add_co_u32_e32 v0, vcc, v21, v0
	v_addc_co_u32_e32 v1, vcc, v14, v1, vcc
	v_pack_b32_f16 v2, v17, v23
	v_mov_b32_e32 v7, v4
	v_add_u32_e32 v4, 0x2ca, v3
	global_store_dword v[0:1], v2, off
	v_mad_u64_u32 v[2:3], s[0:1], s20, v4, 0
	s_mov_b32 s0, 0xd62b80d7
	v_mul_hi_u32 v5, v16, s0
	v_fma_f16 v15, v37, -0.5, v15
	v_mad_u64_u32 v[3:4], s[0:1], s21, v4, v[3:4]
	v_fma_f16 v26, v35, s2, v28
	v_fma_f16 v27, v38, s3, v15
	;; [unrolled: 1-line block ×3, first 2 shown]
	s_movk_i32 s2, 0x264
	v_lshrrev_b32_e32 v4, 8, v5
	v_lshlrev_b64 v[0:1], 2, v[6:7]
	v_mad_u32_u24 v7, v4, s2, v16
	v_mad_u64_u32 v[4:5], s[0:1], s20, v7, 0
	v_add_co_u32_e32 v0, vcc, v21, v0
	v_addc_co_u32_e32 v1, vcc, v14, v1, vcc
	v_pack_b32_f16 v6, v31, v32
	global_store_dword v[0:1], v6, off
	v_lshlrev_b64 v[0:1], 2, v[2:3]
	v_mov_b32_e32 v2, v5
	v_mad_u64_u32 v[2:3], s[0:1], s21, v7, v[2:3]
	v_add_co_u32_e32 v0, vcc, v21, v0
	v_addc_co_u32_e32 v1, vcc, v14, v1, vcc
	v_pack_b32_f16 v3, v30, v24
	v_mov_b32_e32 v5, v2
	global_store_dword v[0:1], v3, off
	v_lshlrev_b64 v[0:1], 2, v[4:5]
	v_add_u32_e32 v4, 0x132, v7
	v_mad_u64_u32 v[2:3], s[0:1], s20, v4, 0
	v_add_u32_e32 v7, 0x264, v7
	v_add_co_u32_e32 v0, vcc, v21, v0
	v_mad_u64_u32 v[3:4], s[0:1], s21, v4, v[3:4]
	v_mad_u64_u32 v[4:5], s[0:1], s20, v7, 0
	v_addc_co_u32_e32 v1, vcc, v14, v1, vcc
	v_pack_b32_f16 v6, v20, v19
	global_store_dword v[0:1], v6, off
	v_lshlrev_b64 v[0:1], 2, v[2:3]
	v_mov_b32_e32 v2, v5
	v_mad_u64_u32 v[2:3], s[0:1], s21, v7, v[2:3]
	v_fma_f16 v28, v35, s3, v28
	v_add_co_u32_e32 v0, vcc, v21, v0
	v_addc_co_u32_e32 v1, vcc, v14, v1, vcc
	v_pack_b32_f16 v3, v15, v28
	v_mov_b32_e32 v5, v2
	global_store_dword v[0:1], v3, off
	v_lshlrev_b64 v[0:1], 2, v[4:5]
	v_pack_b32_f16 v2, v27, v26
	v_add_co_u32_e32 v0, vcc, v21, v0
	v_addc_co_u32_e32 v1, vcc, v14, v1, vcc
	global_store_dword v[0:1], v2, off
.LBB0_25:
	s_endpgm
	.section	.rodata,"a",@progbits
	.p2align	6, 0x0
	.amdhsa_kernel fft_rtc_fwd_len918_factors_17_9_2_3_wgs_102_tpt_102_halfLds_half_op_CI_CI_sbrr_dirReg
		.amdhsa_group_segment_fixed_size 0
		.amdhsa_private_segment_fixed_size 0
		.amdhsa_kernarg_size 104
		.amdhsa_user_sgpr_count 6
		.amdhsa_user_sgpr_private_segment_buffer 1
		.amdhsa_user_sgpr_dispatch_ptr 0
		.amdhsa_user_sgpr_queue_ptr 0
		.amdhsa_user_sgpr_kernarg_segment_ptr 1
		.amdhsa_user_sgpr_dispatch_id 0
		.amdhsa_user_sgpr_flat_scratch_init 0
		.amdhsa_user_sgpr_private_segment_size 0
		.amdhsa_uses_dynamic_stack 0
		.amdhsa_system_sgpr_private_segment_wavefront_offset 0
		.amdhsa_system_sgpr_workgroup_id_x 1
		.amdhsa_system_sgpr_workgroup_id_y 0
		.amdhsa_system_sgpr_workgroup_id_z 0
		.amdhsa_system_sgpr_workgroup_info 0
		.amdhsa_system_vgpr_workitem_id 0
		.amdhsa_next_free_vgpr 95
		.amdhsa_next_free_sgpr 32
		.amdhsa_reserve_vcc 1
		.amdhsa_reserve_flat_scratch 0
		.amdhsa_float_round_mode_32 0
		.amdhsa_float_round_mode_16_64 0
		.amdhsa_float_denorm_mode_32 3
		.amdhsa_float_denorm_mode_16_64 3
		.amdhsa_dx10_clamp 1
		.amdhsa_ieee_mode 1
		.amdhsa_fp16_overflow 0
		.amdhsa_exception_fp_ieee_invalid_op 0
		.amdhsa_exception_fp_denorm_src 0
		.amdhsa_exception_fp_ieee_div_zero 0
		.amdhsa_exception_fp_ieee_overflow 0
		.amdhsa_exception_fp_ieee_underflow 0
		.amdhsa_exception_fp_ieee_inexact 0
		.amdhsa_exception_int_div_zero 0
	.end_amdhsa_kernel
	.text
.Lfunc_end0:
	.size	fft_rtc_fwd_len918_factors_17_9_2_3_wgs_102_tpt_102_halfLds_half_op_CI_CI_sbrr_dirReg, .Lfunc_end0-fft_rtc_fwd_len918_factors_17_9_2_3_wgs_102_tpt_102_halfLds_half_op_CI_CI_sbrr_dirReg
                                        ; -- End function
	.section	.AMDGPU.csdata,"",@progbits
; Kernel info:
; codeLenInByte = 11280
; NumSgprs: 36
; NumVgprs: 95
; ScratchSize: 0
; MemoryBound: 0
; FloatMode: 240
; IeeeMode: 1
; LDSByteSize: 0 bytes/workgroup (compile time only)
; SGPRBlocks: 4
; VGPRBlocks: 23
; NumSGPRsForWavesPerEU: 36
; NumVGPRsForWavesPerEU: 95
; Occupancy: 2
; WaveLimiterHint : 1
; COMPUTE_PGM_RSRC2:SCRATCH_EN: 0
; COMPUTE_PGM_RSRC2:USER_SGPR: 6
; COMPUTE_PGM_RSRC2:TRAP_HANDLER: 0
; COMPUTE_PGM_RSRC2:TGID_X_EN: 1
; COMPUTE_PGM_RSRC2:TGID_Y_EN: 0
; COMPUTE_PGM_RSRC2:TGID_Z_EN: 0
; COMPUTE_PGM_RSRC2:TIDIG_COMP_CNT: 0
	.type	__hip_cuid_62c8dae7b6895ef6,@object ; @__hip_cuid_62c8dae7b6895ef6
	.section	.bss,"aw",@nobits
	.globl	__hip_cuid_62c8dae7b6895ef6
__hip_cuid_62c8dae7b6895ef6:
	.byte	0                               ; 0x0
	.size	__hip_cuid_62c8dae7b6895ef6, 1

	.ident	"AMD clang version 19.0.0git (https://github.com/RadeonOpenCompute/llvm-project roc-6.4.0 25133 c7fe45cf4b819c5991fe208aaa96edf142730f1d)"
	.section	".note.GNU-stack","",@progbits
	.addrsig
	.addrsig_sym __hip_cuid_62c8dae7b6895ef6
	.amdgpu_metadata
---
amdhsa.kernels:
  - .args:
      - .actual_access:  read_only
        .address_space:  global
        .offset:         0
        .size:           8
        .value_kind:     global_buffer
      - .offset:         8
        .size:           8
        .value_kind:     by_value
      - .actual_access:  read_only
        .address_space:  global
        .offset:         16
        .size:           8
        .value_kind:     global_buffer
      - .actual_access:  read_only
        .address_space:  global
        .offset:         24
        .size:           8
        .value_kind:     global_buffer
      - .actual_access:  read_only
        .address_space:  global
        .offset:         32
        .size:           8
        .value_kind:     global_buffer
      - .offset:         40
        .size:           8
        .value_kind:     by_value
      - .actual_access:  read_only
        .address_space:  global
        .offset:         48
        .size:           8
        .value_kind:     global_buffer
      - .actual_access:  read_only
        .address_space:  global
        .offset:         56
        .size:           8
        .value_kind:     global_buffer
      - .offset:         64
        .size:           4
        .value_kind:     by_value
      - .actual_access:  read_only
        .address_space:  global
        .offset:         72
        .size:           8
        .value_kind:     global_buffer
      - .actual_access:  read_only
        .address_space:  global
        .offset:         80
        .size:           8
        .value_kind:     global_buffer
      - .actual_access:  read_only
        .address_space:  global
        .offset:         88
        .size:           8
        .value_kind:     global_buffer
      - .actual_access:  write_only
        .address_space:  global
        .offset:         96
        .size:           8
        .value_kind:     global_buffer
    .group_segment_fixed_size: 0
    .kernarg_segment_align: 8
    .kernarg_segment_size: 104
    .language:       OpenCL C
    .language_version:
      - 2
      - 0
    .max_flat_workgroup_size: 102
    .name:           fft_rtc_fwd_len918_factors_17_9_2_3_wgs_102_tpt_102_halfLds_half_op_CI_CI_sbrr_dirReg
    .private_segment_fixed_size: 0
    .sgpr_count:     36
    .sgpr_spill_count: 0
    .symbol:         fft_rtc_fwd_len918_factors_17_9_2_3_wgs_102_tpt_102_halfLds_half_op_CI_CI_sbrr_dirReg.kd
    .uniform_work_group_size: 1
    .uses_dynamic_stack: false
    .vgpr_count:     95
    .vgpr_spill_count: 0
    .wavefront_size: 64
amdhsa.target:   amdgcn-amd-amdhsa--gfx906
amdhsa.version:
  - 1
  - 2
...

	.end_amdgpu_metadata
